;; amdgpu-corpus repo=amd/amd-lab-notes kind=compiled arch=gfx906 opt=O3
	.amdgcn_target "amdgcn-amd-amdhsa--gfx906"
	.amdhsa_code_object_version 6
	.text
	.protected	_Z6kernelPdS_S_S_S_S_S_S_S_S_S_S_S_S_S_S_S_S_S_S_S_S_S_S_S_S_S_S_S_S_S_iiiiiiiddddddddddddddd ; -- Begin function _Z6kernelPdS_S_S_S_S_S_S_S_S_S_S_S_S_S_S_S_S_S_S_S_S_S_S_S_S_S_S_S_S_S_iiiiiiiddddddddddddddd
	.globl	_Z6kernelPdS_S_S_S_S_S_S_S_S_S_S_S_S_S_S_S_S_S_S_S_S_S_S_S_S_S_S_S_S_S_iiiiiiiddddddddddddddd
	.p2align	8
	.type	_Z6kernelPdS_S_S_S_S_S_S_S_S_S_S_S_S_S_S_S_S_S_S_S_S_S_S_S_S_S_S_S_S_S_iiiiiiiddddddddddddddd,@function
_Z6kernelPdS_S_S_S_S_S_S_S_S_S_S_S_S_S_S_S_S_S_S_S_S_S_S_S_S_S_S_S_S_S_iiiiiiiddddddddddddddd: ; @_Z6kernelPdS_S_S_S_S_S_S_S_S_S_S_S_S_S_S_S_S_S_S_S_S_S_S_S_S_S_S_S_S_S_iiiiiiiddddddddddddddd
; %bb.0:
	s_mov_b64 s[86:87], s[2:3]
	s_mov_b64 s[84:85], s[0:1]
	s_load_dwordx2 s[10:11], s[4:5], 0x19c
	s_load_dwordx4 s[0:3], s[4:5], 0xf8
	s_add_u32 s84, s84, s9
	s_addc_u32 s85, s85, 0
	s_waitcnt lgkmcnt(0)
	s_and_b32 s9, s11, 0xffff
	s_lshr_b32 s11, s10, 16
	s_and_b32 s10, s10, 0xffff
	s_mul_i32 s6, s6, s10
	s_mul_i32 s7, s7, s11
	v_add_u32_e32 v0, s6, v0
	v_add_u32_e32 v1, s7, v1
	s_mul_i32 s8, s8, s9
	v_add_u32_e32 v2, s8, v2
	v_cmp_ge_i32_e32 vcc, s0, v0
	v_cmp_ge_i32_e64 s[0:1], s1, v1
	s_and_b64 s[0:1], vcc, s[0:1]
	v_cmp_ge_i32_e32 vcc, s2, v2
	s_and_b64 s[0:1], s[0:1], vcc
	s_and_saveexec_b64 s[6:7], s[0:1]
	s_cbranch_execz .LBB0_2
; %bb.1:
	s_load_dwordx4 s[80:83], s[4:5], 0x108
	s_load_dwordx16 s[16:31], s[4:5], 0x0
	s_load_dwordx16 s[36:51], s[4:5], 0x40
	s_load_dwordx8 s[52:59], s[4:5], 0x80
	s_load_dwordx8 s[68:75], s[4:5], 0xa0
	s_load_dwordx4 s[76:79], s[4:5], 0xc0
	s_waitcnt lgkmcnt(0)
	v_mad_u64_u32 v[1:2], s[0:1], v2, s80, v[1:2]
	v_mov_b32_e32 v2, s45
	s_load_dwordx8 s[60:67], s[4:5], 0xd8
	v_mad_u64_u32 v[3:4], s[0:1], v1, s3, v[0:1]
	v_mov_b32_e32 v1, s17
	s_load_dwordx2 s[0:1], s[4:5], 0xd0
	v_ashrrev_i32_e32 v4, 31, v3
	v_add_u32_e32 v0, s81, v3
	buffer_store_dword v3, off, s[84:87], 0 offset:88 ; 4-byte Folded Spill
	s_nop 0
	buffer_store_dword v4, off, s[84:87], 0 offset:92 ; 4-byte Folded Spill
	v_mov_b32_e32 v5, s23
	v_mov_b32_e32 v6, s25
	;; [unrolled: 1-line block ×4, first 2 shown]
	s_mul_i32 s2, s80, s3
	v_lshlrev_b64 v[14:15], 3, v[3:4]
	v_mov_b32_e32 v3, s21
	v_add_co_u32_e32 v20, vcc, s16, v14
	v_addc_co_u32_e32 v21, vcc, v1, v15, vcc
	v_add_co_u32_e32 v1, vcc, s44, v14
	v_addc_co_u32_e32 v2, vcc, v2, v15, vcc
	v_mov_b32_e32 v58, v2
	v_mov_b32_e32 v57, v1
	v_ashrrev_i32_e32 v1, 31, v0
	v_lshlrev_b64 v[39:40], 3, v[0:1]
	v_mov_b32_e32 v0, s47
	v_add_co_u32_e32 v1, vcc, s46, v39
	v_addc_co_u32_e32 v2, vcc, v0, v40, vcc
	v_mov_b32_e32 v33, v2
	v_mov_b32_e32 v32, v1
	;; [unrolled: 1-line block ×3, first 2 shown]
	v_add_co_u32_e32 v1, vcc, s48, v39
	v_addc_co_u32_e32 v2, vcc, v0, v40, vcc
	v_mov_b32_e32 v31, v2
	v_mov_b32_e32 v30, v1
	;; [unrolled: 1-line block ×3, first 2 shown]
	v_add_co_u32_e32 v1, vcc, s50, v39
	v_addc_co_u32_e32 v2, vcc, v0, v40, vcc
	v_mov_b32_e32 v0, s53
	v_add_co_u32_e32 v37, vcc, s52, v39
	v_addc_co_u32_e32 v38, vcc, v0, v40, vcc
	v_mov_b32_e32 v0, s55
	v_add_co_u32_e32 v41, vcc, s54, v39
	v_mov_b32_e32 v60, v2
	v_addc_co_u32_e32 v42, vcc, v0, v40, vcc
	v_mov_b32_e32 v59, v1
	v_mov_b32_e32 v0, s57
	v_add_co_u32_e32 v1, vcc, s56, v39
	v_addc_co_u32_e32 v2, vcc, v0, v40, vcc
	v_mov_b32_e32 v0, s69
	v_add_co_u32_e32 v26, vcc, s68, v39
	v_mov_b32_e32 v29, v2
	v_addc_co_u32_e32 v27, vcc, v0, v40, vcc
	v_mov_b32_e32 v28, v1
	v_mov_b32_e32 v0, s71
	v_add_co_u32_e32 v1, vcc, s70, v39
	v_addc_co_u32_e32 v2, vcc, v0, v40, vcc
	v_mov_b32_e32 v13, v2
	v_mov_b32_e32 v12, v1
	v_mov_b32_e32 v0, s73
	v_add_co_u32_e32 v1, vcc, s72, v39
	v_addc_co_u32_e32 v2, vcc, v0, v40, vcc
	v_mov_b32_e32 v56, v2
	;; [unrolled: 5-line block ×4, first 2 shown]
	v_add_co_u32_e32 v45, vcc, s78, v39
	v_addc_co_u32_e32 v46, vcc, v0, v40, vcc
	s_waitcnt lgkmcnt(0)
	v_mov_b32_e32 v0, s61
	v_add_co_u32_e32 v51, vcc, s60, v39
	v_mov_b32_e32 v19, v2
	v_addc_co_u32_e32 v52, vcc, v0, v40, vcc
	v_mov_b32_e32 v18, v1
	v_mov_b32_e32 v1, s19
	v_add_co_u32_e32 v0, vcc, s18, v14
	buffer_store_dword v57, off, s[84:87], 0 offset:104 ; 4-byte Folded Spill
	s_nop 0
	buffer_store_dword v58, off, s[84:87], 0 offset:108 ; 4-byte Folded Spill
	buffer_store_dword v32, off, s[84:87], 0 offset:168 ; 4-byte Folded Spill
	s_nop 0
	buffer_store_dword v33, off, s[84:87], 0 offset:172 ; 4-byte Folded Spill
	;; [unrolled: 3-line block ×7, first 2 shown]
	v_addc_co_u32_e32 v1, vcc, v1, v15, vcc
	global_load_dwordx2 v[53:54], v[20:21], off
	v_add_co_u32_e32 v2, vcc, s20, v14
	global_load_dwordx2 v[0:1], v[0:1], off
	v_addc_co_u32_e32 v3, vcc, v3, v15, vcc
	v_add_co_u32_e32 v4, vcc, s22, v14
	s_load_dwordx16 s[8:23], s[4:5], 0x118
	v_addc_co_u32_e32 v5, vcc, v5, v15, vcc
	v_add_co_u32_e32 v35, vcc, s24, v14
	v_addc_co_u32_e32 v36, vcc, v6, v15, vcc
	v_mov_b32_e32 v6, s63
	s_waitcnt vmcnt(1) lgkmcnt(0)
	v_mul_f64 v[20:21], s[10:11], v[53:54]
	v_fma_f64 v[22:23], v[53:54], v[53:54], -s[12:13]
	s_waitcnt vmcnt(0)
	v_mul_f64 v[0:1], s[8:9], v[0:1]
	s_mov_b32 s8, 0
	s_mov_b32 s9, 0xc0180000
	v_fma_f64 v[43:44], v[20:21], v[22:23], -v[0:1]
	v_mov_b32_e32 v0, s27
	v_add_co_u32_e32 v20, vcc, s26, v14
	v_addc_co_u32_e32 v21, vcc, v0, v15, vcc
	v_add_co_u32_e32 v47, vcc, s62, v39
	v_addc_co_u32_e32 v48, vcc, v6, v40, vcc
	v_mov_b32_e32 v6, s65
	v_add_co_u32_e32 v7, vcc, s64, v39
	v_addc_co_u32_e32 v8, vcc, v6, v40, vcc
	v_mul_f64 v[0:1], s[14:15], v[24:25]
	v_mov_b32_e32 v25, v8
	v_mov_b32_e32 v24, v7
	;; [unrolled: 1-line block ×3, first 2 shown]
	v_add_co_u32_e32 v7, vcc, s66, v39
	v_addc_co_u32_e32 v8, vcc, v6, v40, vcc
	global_load_dwordx2 v[14:15], v[20:21], off
	s_nop 0
	buffer_store_dword v24, off, s[84:87], 0 offset:8 ; 4-byte Folded Spill
	s_nop 0
	buffer_store_dword v25, off, s[84:87], 0 offset:12 ; 4-byte Folded Spill
	buffer_store_dword v7, off, s[84:87], 0 ; 4-byte Folded Spill
	s_nop 0
	buffer_store_dword v8, off, s[84:87], 0 offset:4 ; 4-byte Folded Spill
	global_load_dwordx2 v[49:50], v[2:3], off
	s_nop 0
	global_load_dwordx2 v[2:3], v[4:5], off
	s_waitcnt vmcnt(0)
	buffer_store_dword v2, off, s[84:87], 0 offset:136 ; 4-byte Folded Spill
	s_nop 0
	buffer_store_dword v3, off, s[84:87], 0 offset:140 ; 4-byte Folded Spill
	global_load_dwordx2 v[2:3], v[35:36], off
	s_waitcnt vmcnt(0)
	buffer_store_dword v2, off, s[84:87], 0 offset:120 ; 4-byte Folded Spill
	s_nop 0
	buffer_store_dword v3, off, s[84:87], 0 offset:124 ; 4-byte Folded Spill
	global_load_dwordx2 v[4:5], v[57:58], off
	global_load_dwordx2 v[35:36], v[32:33], off
	s_nop 0
	global_load_dwordx2 v[57:58], v[30:31], off
	s_nop 0
	;; [unrolled: 2-line block ×4, first 2 shown]
	buffer_store_dword v41, off, s[84:87], 0 offset:112 ; 4-byte Folded Spill
	s_nop 0
	buffer_store_dword v42, off, s[84:87], 0 offset:116 ; 4-byte Folded Spill
	v_mul_f64 v[0:1], v[0:1], v[43:44]
	v_mov_b32_e32 v30, v55
	v_mov_b32_e32 v31, v56
	;; [unrolled: 1-line block ×6, first 2 shown]
	v_mul_f64 v[0:1], s[16:17], v[0:1]
	v_fma_f64 v[0:1], s[18:19], v[14:15], -v[0:1]
	v_fma_f64 v[9:10], s[16:17], v[53:54], v[0:1]
	global_load_dwordx2 v[0:1], v[41:42], off
	global_load_dwordx2 v[2:3], v[28:29], off
	;; [unrolled: 1-line block ×3, first 2 shown]
	s_nop 0
	global_load_dwordx2 v[28:29], v[12:13], off
	v_mov_b32_e32 v27, v13
	v_mov_b32_e32 v26, v12
	buffer_store_dword v26, off, s[84:87], 0 offset:80 ; 4-byte Folded Spill
	s_nop 0
	buffer_store_dword v27, off, s[84:87], 0 offset:84 ; 4-byte Folded Spill
	global_load_dwordx2 v[12:13], v[55:56], off
	s_nop 0
	buffer_store_dword v30, off, s[84:87], 0 offset:72 ; 4-byte Folded Spill
	s_nop 0
	buffer_store_dword v31, off, s[84:87], 0 offset:76 ; 4-byte Folded Spill
	global_load_dwordx2 v[14:15], v[16:17], off
	s_nop 0
	;; [unrolled: 5-line block ×4, first 2 shown]
	buffer_store_dword v45, off, s[84:87], 0 offset:48 ; 4-byte Folded Spill
	s_nop 0
	buffer_store_dword v46, off, s[84:87], 0 offset:52 ; 4-byte Folded Spill
	global_load_dwordx2 v[55:56], v[51:52], off
	s_waitcnt vmcnt(0)
	buffer_store_dword v55, off, s[84:87], 0 offset:184 ; 4-byte Folded Spill
	s_nop 0
	buffer_store_dword v56, off, s[84:87], 0 offset:188 ; 4-byte Folded Spill
	buffer_store_dword v51, off, s[84:87], 0 offset:40 ; 4-byte Folded Spill
	s_nop 0
	buffer_store_dword v52, off, s[84:87], 0 offset:44 ; 4-byte Folded Spill
	global_load_dwordx2 v[55:56], v[47:48], off
	s_waitcnt vmcnt(0)
	buffer_store_dword v55, off, s[84:87], 0 offset:192 ; 4-byte Folded Spill
	s_nop 0
	buffer_store_dword v56, off, s[84:87], 0 offset:196 ; 4-byte Folded Spill
	buffer_store_dword v47, off, s[84:87], 0 offset:32 ; 4-byte Folded Spill
	s_nop 0
	buffer_store_dword v48, off, s[84:87], 0 offset:36 ; 4-byte Folded Spill
	global_load_dwordx2 v[55:56], v[24:25], off
	s_nop 0
	global_load_dwordx2 v[6:7], v[7:8], off
	v_add_f64 v[4:5], v[4:5], v[35:36]
	s_waitcnt vmcnt(0)
	buffer_store_dword v6, off, s[84:87], 0 offset:176 ; 4-byte Folded Spill
	s_nop 0
	buffer_store_dword v7, off, s[84:87], 0 offset:180 ; 4-byte Folded Spill
	v_add_f64 v[4:5], v[4:5], v[57:58]
	global_store_dwordx2 v[20:21], v[9:10], off
	v_add_f64 v[4:5], v[4:5], v[59:60]
	v_add_f64 v[4:5], v[4:5], v[61:62]
	;; [unrolled: 1-line block ×4, first 2 shown]
	v_mov_b32_e32 v3, s59
	v_add_co_u32_e32 v2, vcc, s58, v39
	v_addc_co_u32_e32 v3, vcc, v3, v40, vcc
	global_load_dwordx2 v[2:3], v[2:3], off
	s_waitcnt vmcnt(0)
	v_add_f64 v[0:1], v[0:1], v[2:3]
	v_mov_b32_e32 v7, v3
	v_mov_b32_e32 v6, v2
	;; [unrolled: 1-line block ×4, first 2 shown]
	v_add_f64 v[0:1], v[0:1], v[22:23]
	v_add_f64 v[0:1], v[0:1], v[28:29]
	;; [unrolled: 1-line block ×6, first 2 shown]
	v_mov_b32_e32 v1, s1
	v_add_co_u32_e32 v0, vcc, s0, v39
	v_addc_co_u32_e32 v1, vcc, v1, v40, vcc
	global_load_dwordx2 v[4:5], v[0:1], off
	s_waitcnt vmcnt(0)
	v_add_f64 v[0:1], v[2:3], v[4:5]
	buffer_load_dword v2, off, s[84:87], 0 offset:184 ; 4-byte Folded Reload
	buffer_load_dword v3, off, s[84:87], 0 offset:188 ; 4-byte Folded Reload
	v_mov_b32_e32 v17, v5
	v_mov_b32_e32 v16, v4
	s_waitcnt vmcnt(0)
	v_add_f64 v[0:1], v[0:1], v[2:3]
	buffer_load_dword v2, off, s[84:87], 0 offset:192 ; 4-byte Folded Reload
	buffer_load_dword v3, off, s[84:87], 0 offset:196 ; 4-byte Folded Reload
	;; [unrolled: 1-line block ×4, first 2 shown]
	s_waitcnt vmcnt(2)
	v_add_f64 v[0:1], v[0:1], v[2:3]
	s_waitcnt vmcnt(0)
	global_load_dwordx2 v[2:3], v[20:21], off
	buffer_load_dword v24, off, s[84:87], 0 offset:160 ; 4-byte Folded Reload
	buffer_load_dword v25, off, s[84:87], 0 offset:164 ; 4-byte Folded Reload
	v_add_f64 v[0:1], v[0:1], v[55:56]
	s_waitcnt vmcnt(0)
	global_load_dwordx2 v[4:5], v[24:25], off
	s_waitcnt vmcnt(0)
	v_add_f64 v[2:3], v[2:3], -v[4:5]
	buffer_load_dword v4, off, s[84:87], 0 offset:176 ; 4-byte Folded Reload
	buffer_load_dword v5, off, s[84:87], 0 offset:180 ; 4-byte Folded Reload
	s_nop 0
	buffer_store_dword v57, off, s[84:87], 0 offset:24 ; 4-byte Folded Spill
	s_nop 0
	buffer_store_dword v58, off, s[84:87], 0 offset:28 ; 4-byte Folded Spill
	s_waitcnt vmcnt(2)
	v_add_f64 v[55:56], v[0:1], v[4:5]
	v_add_f64 v[0:1], v[57:58], v[2:3]
	buffer_load_dword v2, off, s[84:87], 0 offset:16 ; 4-byte Folded Reload
	buffer_load_dword v3, off, s[84:87], 0 offset:20 ; 4-byte Folded Reload
	global_load_dwordx2 v[4:5], v[26:27], off
	global_load_dwordx2 v[6:7], v[30:31], off
	;; [unrolled: 1-line block ×5, first 2 shown]
	v_mov_b32_e32 v31, v17
	v_mov_b32_e32 v30, v16
	s_waitcnt vmcnt(5)
	global_load_dwordx2 v[2:3], v[2:3], off
	s_nop 0
	buffer_store_dword v30, off, s[84:87], 0 offset:96 ; 4-byte Folded Spill
	s_nop 0
	buffer_store_dword v31, off, s[84:87], 0 offset:100 ; 4-byte Folded Spill
	buffer_load_dword v26, off, s[84:87], 0 offset:152 ; 4-byte Folded Reload
	buffer_load_dword v27, off, s[84:87], 0 offset:156 ; 4-byte Folded Reload
	s_waitcnt vmcnt(4)
	v_add_f64 v[0:1], v[0:1], -v[2:3]
	v_add_f64 v[0:1], v[4:5], v[0:1]
	v_add_f64 v[0:1], v[0:1], -v[6:7]
	v_add_f64 v[0:1], v[8:9], v[0:1]
	;; [unrolled: 2-line block ×3, first 2 shown]
	v_add_f64 v[14:15], v[0:1], -v[16:17]
	v_mul_f64 v[0:1], v[49:50], v[43:44]
	v_fma_f64 v[14:15], v[0:1], 0.5, v[14:15]
	v_div_scale_f64 v[16:17], s[6:7], v[55:56], v[55:56], v[14:15]
	v_rcp_f64_e32 v[18:19], v[16:17]
	v_fma_f64 v[22:23], -v[16:17], v[18:19], 1.0
	v_fma_f64 v[18:19], v[18:19], v[22:23], v[18:19]
	v_fma_f64 v[22:23], -v[16:17], v[18:19], 1.0
	v_fma_f64 v[18:19], v[18:19], v[22:23], v[18:19]
	v_div_scale_f64 v[22:23], vcc, v[14:15], v[55:56], v[14:15]
	v_mul_f64 v[45:46], v[22:23], v[18:19]
	v_fma_f64 v[16:17], -v[16:17], v[45:46], v[22:23]
	s_nop 1
	v_div_fmas_f64 v[16:17], v[16:17], v[18:19], v[45:46]
	s_waitcnt vmcnt(0)
	global_load_dwordx2 v[18:19], v[26:27], off
	buffer_load_dword v28, off, s[84:87], 0 offset:144 ; 4-byte Folded Reload
	buffer_load_dword v29, off, s[84:87], 0 offset:148 ; 4-byte Folded Reload
	s_waitcnt vmcnt(0)
	global_load_dwordx2 v[22:23], v[28:29], off
	s_waitcnt vmcnt(0)
	v_add_f64 v[18:19], v[18:19], -v[22:23]
	v_add_f64 v[18:19], v[57:58], v[18:19]
	v_add_f64 v[2:3], v[18:19], -v[2:3]
	v_add_f64 v[2:3], v[2:3], -v[4:5]
	global_load_dwordx2 v[4:5], v[51:52], off
	v_add_f64 v[2:3], v[6:7], v[2:3]
	global_load_dwordx2 v[6:7], v[47:48], off
	buffer_load_dword v18, off, s[84:87], 0 offset:8 ; 4-byte Folded Reload
	buffer_load_dword v19, off, s[84:87], 0 offset:12 ; 4-byte Folded Reload
	s_waitcnt vmcnt(3)
	v_add_f64 v[2:3], v[4:5], v[2:3]
	s_waitcnt vmcnt(2)
	v_add_f64 v[2:3], v[2:3], -v[6:7]
	s_waitcnt vmcnt(0)
	global_load_dwordx2 v[18:19], v[18:19], off
	s_nop 0
	buffer_load_dword v22, off, s[84:87], 0 ; 4-byte Folded Reload
	buffer_load_dword v23, off, s[84:87], 0 offset:4 ; 4-byte Folded Reload
	s_waitcnt vmcnt(2)
	v_add_f64 v[2:3], v[18:19], v[2:3]
	s_waitcnt vmcnt(0)
	global_load_dwordx2 v[22:23], v[22:23], off
	s_nop 0
	buffer_load_dword v34, off, s[84:87], 0 offset:136 ; 4-byte Folded Reload
	buffer_load_dword v35, off, s[84:87], 0 offset:140 ; 4-byte Folded Reload
	s_waitcnt vmcnt(2)
	v_add_f64 v[45:46], v[2:3], -v[22:23]
	s_waitcnt vmcnt(0)
	v_mul_f64 v[2:3], v[43:44], v[34:35]
	v_fma_f64 v[45:46], v[2:3], 0.5, v[45:46]
	v_div_scale_f64 v[51:52], s[6:7], v[55:56], v[55:56], v[45:46]
	v_rcp_f64_e32 v[57:58], v[51:52]
	v_fma_f64 v[59:60], -v[51:52], v[57:58], 1.0
	v_fma_f64 v[57:58], v[57:58], v[59:60], v[57:58]
	v_fma_f64 v[59:60], -v[51:52], v[57:58], 1.0
	v_fma_f64 v[57:58], v[57:58], v[59:60], v[57:58]
	v_div_scale_f64 v[59:60], vcc, v[45:46], v[55:56], v[45:46]
	v_mul_f64 v[61:62], v[59:60], v[57:58]
	v_fma_f64 v[51:52], -v[51:52], v[61:62], v[59:60]
	s_nop 1
	v_div_fmas_f64 v[51:52], v[51:52], v[57:58], v[61:62]
	global_load_dwordx2 v[57:58], v[41:42], off
	buffer_load_dword v47, off, s[84:87], 0 offset:128 ; 4-byte Folded Reload
	buffer_load_dword v48, off, s[84:87], 0 offset:132 ; 4-byte Folded Reload
	v_div_fixup_f64 v[41:42], v[51:52], v[55:56], v[45:46]
	s_waitcnt vmcnt(0)
	global_load_dwordx2 v[59:60], v[47:48], off
	s_waitcnt vmcnt(0)
	v_add_f64 v[57:58], v[57:58], -v[59:60]
	v_add_f64 v[8:9], v[8:9], v[57:58]
	v_div_fixup_f64 v[57:58], v[16:17], v[55:56], v[14:15]
	v_add_f64 v[8:9], v[8:9], -v[10:11]
	v_add_f64 v[8:9], v[8:9], -v[12:13]
	v_add_f64 v[8:9], v[30:31], v[8:9]
	v_add_f64 v[4:5], v[4:5], v[8:9]
	v_add_f64 v[4:5], v[4:5], -v[6:7]
	buffer_load_dword v6, off, s[84:87], 0 offset:120 ; 4-byte Folded Reload
	buffer_load_dword v7, off, s[84:87], 0 offset:124 ; 4-byte Folded Reload
	v_add_f64 v[4:5], v[4:5], -v[18:19]
	v_add_f64 v[4:5], v[22:23], v[4:5]
	s_waitcnt vmcnt(0)
	v_mul_f64 v[59:60], v[43:44], v[6:7]
	v_fma_f64 v[4:5], v[59:60], 0.5, v[4:5]
	v_div_scale_f64 v[6:7], s[6:7], v[55:56], v[55:56], v[4:5]
	s_mov_b32 s6, 0
	s_mov_b32 s7, 0x3ff80000
	v_rcp_f64_e32 v[8:9], v[6:7]
	v_fma_f64 v[10:11], -v[6:7], v[8:9], 1.0
	v_fma_f64 v[8:9], v[8:9], v[10:11], v[8:9]
	v_fma_f64 v[10:11], -v[6:7], v[8:9], 1.0
	v_fma_f64 v[8:9], v[8:9], v[10:11], v[8:9]
	v_div_scale_f64 v[10:11], vcc, v[4:5], v[55:56], v[4:5]
	v_mul_f64 v[12:13], v[10:11], v[8:9]
	v_fma_f64 v[6:7], -v[6:7], v[12:13], v[10:11]
	v_mov_b32_e32 v10, s20
	v_mov_b32_e32 v11, s21
	v_mul_f64 v[10:11], s[16:17], v[10:11]
	v_div_fmas_f64 v[6:7], v[6:7], v[8:9], v[12:13]
	v_mov_b32_e32 v9, s29
	v_add_co_u32_e32 v8, vcc, s28, v39
	v_addc_co_u32_e32 v9, vcc, v9, v40, vcc
	global_load_dwordx2 v[14:15], v[8:9], off
	v_mul_f64 v[12:13], s[14:15], 0.5
	v_mul_f64 v[10:11], v[10:11], v[53:54]
	v_mul_f64 v[12:13], v[12:13], v[43:44]
	v_div_fixup_f64 v[45:46], v[6:7], v[55:56], v[4:5]
	v_mov_b32_e32 v5, s41
	v_mul_f64 v[12:13], s[16:17], v[12:13]
	s_waitcnt vmcnt(0)
	v_fma_f64 v[14:15], s[18:19], v[14:15], v[12:13]
	v_fma_f64 v[14:15], v[10:11], v[57:58], v[14:15]
	global_store_dwordx2 v[8:9], v[14:15], off
	v_mov_b32_e32 v9, s31
	v_add_co_u32_e32 v8, vcc, s30, v39
	v_addc_co_u32_e32 v9, vcc, v9, v40, vcc
	global_load_dwordx2 v[14:15], v[8:9], off
	s_waitcnt vmcnt(0)
	v_fma_f64 v[14:15], s[18:19], v[14:15], v[12:13]
	v_fma_f64 v[14:15], -v[10:11], v[57:58], v[14:15]
	global_store_dwordx2 v[8:9], v[14:15], off
	v_mov_b32_e32 v9, s37
	v_add_co_u32_e32 v8, vcc, s36, v39
	v_addc_co_u32_e32 v9, vcc, v9, v40, vcc
	global_load_dwordx2 v[14:15], v[8:9], off
	s_waitcnt vmcnt(0)
	v_fma_f64 v[14:15], s[18:19], v[14:15], v[12:13]
	v_fma_f64 v[14:15], v[10:11], v[41:42], v[14:15]
	global_store_dwordx2 v[8:9], v[14:15], off
	v_mov_b32_e32 v9, s39
	v_add_co_u32_e32 v8, vcc, s38, v39
	v_addc_co_u32_e32 v9, vcc, v9, v40, vcc
	global_load_dwordx2 v[14:15], v[8:9], off
	v_add_co_u32_e32 v4, vcc, s40, v39
	v_addc_co_u32_e32 v5, vcc, v5, v40, vcc
	s_waitcnt vmcnt(0)
	v_fma_f64 v[14:15], s[18:19], v[14:15], v[12:13]
	v_fma_f64 v[14:15], -v[10:11], v[41:42], v[14:15]
	global_store_dwordx2 v[8:9], v[14:15], off
	global_load_dwordx2 v[6:7], v[4:5], off
	s_waitcnt vmcnt(0)
	v_fma_f64 v[6:7], s[18:19], v[6:7], v[12:13]
	v_fma_f64 v[6:7], v[10:11], v[45:46], v[6:7]
	global_store_dwordx2 v[4:5], v[6:7], off
	v_mov_b32_e32 v5, s43
	v_add_co_u32_e32 v4, vcc, s42, v39
	v_addc_co_u32_e32 v5, vcc, v5, v40, vcc
	global_load_dwordx2 v[6:7], v[4:5], off
	s_waitcnt vmcnt(0)
	v_fma_f64 v[6:7], s[18:19], v[6:7], v[12:13]
	v_fma_f64 v[6:7], -v[10:11], v[45:46], v[6:7]
	v_mov_b32_e32 v11, s47
	global_store_dwordx2 v[4:5], v[6:7], off
	buffer_load_dword v8, off, s[84:87], 0 offset:104 ; 4-byte Folded Reload
	buffer_load_dword v9, off, s[84:87], 0 offset:108 ; 4-byte Folded Reload
	v_mul_f64 v[4:5], v[41:42], v[41:42]
	v_mul_f64 v[6:7], v[53:54], s[8:9]
	s_load_dwordx8 s[8:15], s[4:5], 0x160
	s_waitcnt lgkmcnt(0)
	v_mul_f64 v[37:38], s[8:9], v[55:56]
	v_fma_f64 v[4:5], v[57:58], v[57:58], v[4:5]
	v_fma_f64 v[6:7], v[6:7], v[43:44], v[55:56]
	;; [unrolled: 1-line block ×3, first 2 shown]
	v_mul_f64 v[39:40], v[4:5], s[6:7]
	s_mov_b32 s6, 0
	s_mov_b32 s7, 0x40080000
	v_fma_f64 v[4:5], -v[55:56], v[39:40], v[6:7]
	v_mul_f64 v[4:5], s[12:13], v[4:5]
	s_waitcnt vmcnt(0)
	global_load_dwordx2 v[6:7], v[8:9], off
	s_waitcnt vmcnt(0)
	v_fma_f64 v[4:5], s[22:23], v[6:7], v[4:5]
	v_mul_f64 v[6:7], v[2:3], v[41:42]
	v_fma_f64 v[6:7], v[0:1], v[57:58], v[6:7]
	v_fma_f64 v[51:52], v[59:60], v[45:46], v[6:7]
	v_fma_f64 v[4:5], -s[14:15], v[51:52], v[4:5]
	v_fma_f64 v[6:7], v[0:1], v[57:58], -v[51:52]
	global_store_dwordx2 v[8:9], v[4:5], off
	v_mul_f64 v[4:5], v[53:54], s[6:7]
	s_load_dwordx4 s[4:7], s[4:5], 0x180
	v_fma_f64 v[53:54], v[4:5], v[43:44], v[55:56]
	v_mul_f64 v[4:5], v[37:38], v[57:58]
	s_waitcnt lgkmcnt(0)
	v_fma_f64 v[4:5], s[4:5], v[0:1], v[4:5]
	v_mul_f64 v[0:1], v[57:58], 0.5
	v_fma_f64 v[8:9], v[57:58], v[0:1], -v[39:40]
	v_mul_f64 v[0:1], s[8:9], v[53:54]
	v_fma_f64 v[8:9], v[37:38], v[8:9], v[0:1]
	v_fma_f64 v[6:7], s[4:5], v[6:7], v[8:9]
	buffer_load_dword v8, off, s[84:87], 0 offset:88 ; 4-byte Folded Reload
	buffer_load_dword v9, off, s[84:87], 0 offset:92 ; 4-byte Folded Reload
	global_load_dwordx2 v[12:13], v[20:21], off
	s_waitcnt vmcnt(2)
	v_add_u32_e32 v61, s82, v8
	v_ashrrev_i32_e32 v62, 31, v61
	s_waitcnt vmcnt(0)
	v_fma_f64 v[12:13], s[22:23], v[12:13], v[6:7]
	v_lshlrev_b64 v[8:9], 3, v[61:62]
	v_add_u32_e32 v32, s3, v61
	v_add_co_u32_e32 v10, vcc, s46, v8
	v_addc_co_u32_e32 v11, vcc, v11, v9, vcc
	v_add_co_u32_e32 v8, vcc, s48, v8
	v_add_f64 v[12:13], v[4:5], v[12:13]
	v_ashrrev_i32_e32 v33, 31, v32
	v_lshlrev_b64 v[30:31], 3, v[32:33]
	v_fma_f64 v[62:63], v[49:50], v[43:44], v[59:60]
	global_store_dwordx2 v[10:11], v[12:13], off offset:8
	v_mov_b32_e32 v10, s49
	v_addc_co_u32_e32 v9, vcc, v10, v9, vcc
	global_load_dwordx2 v[10:11], v[24:25], off
	s_waitcnt vmcnt(0)
	v_fma_f64 v[6:7], s[22:23], v[10:11], v[6:7]
	v_mul_f64 v[10:11], v[37:38], v[41:42]
	v_add_f64 v[4:5], v[6:7], -v[4:5]
	v_fma_f64 v[6:7], v[2:3], v[41:42], -v[51:52]
	v_fma_f64 v[10:11], s[4:5], v[2:3], v[10:11]
	global_store_dwordx2 v[8:9], v[4:5], off offset:-8
	global_load_dwordx2 v[8:9], v[26:27], off
	v_mul_f64 v[4:5], v[41:42], 0.5
	v_subrev_u32_e32 v26, s3, v61
	v_ashrrev_i32_e32 v27, 31, v26
	v_fma_f64 v[4:5], v[41:42], v[4:5], -v[39:40]
	v_fma_f64 v[4:5], v[37:38], v[4:5], v[0:1]
	v_fma_f64 v[4:5], s[4:5], v[6:7], v[4:5]
	v_mov_b32_e32 v7, s51
	v_add_co_u32_e32 v6, vcc, s50, v30
	v_addc_co_u32_e32 v7, vcc, v7, v31, vcc
	s_waitcnt vmcnt(0)
	v_fma_f64 v[8:9], s[22:23], v[8:9], v[4:5]
	v_add_f64 v[8:9], v[10:11], v[8:9]
	global_store_dwordx2 v[6:7], v[8:9], off
	global_load_dwordx2 v[6:7], v[28:29], off
	v_lshlrev_b64 v[27:28], 3, v[26:27]
	v_fma_f64 v[8:9], v[59:60], v[45:46], -v[51:52]
	s_waitcnt vmcnt(0)
	v_fma_f64 v[4:5], s[22:23], v[6:7], v[4:5]
	v_mov_b32_e32 v7, s53
	v_add_co_u32_e32 v6, vcc, s52, v27
	v_addc_co_u32_e32 v7, vcc, v7, v28, vcc
	v_add_f64 v[4:5], v[4:5], -v[10:11]
	global_store_dwordx2 v[6:7], v[4:5], off
	buffer_load_dword v10, off, s[84:87], 0 offset:112 ; 4-byte Folded Reload
	buffer_load_dword v11, off, s[84:87], 0 offset:116 ; 4-byte Folded Reload
	v_mov_b32_e32 v6, v34
	v_mov_b32_e32 v7, v35
	v_fma_f64 v[4:5], v[49:50], v[43:44], v[2:3]
	v_fma_f64 v[2:3], v[49:50], v[43:44], -v[2:3]
	v_fma_f64 v[49:50], v[49:50], v[43:44], -v[59:60]
	v_fma_f64 v[33:34], v[43:44], v[6:7], v[59:60]
	v_fma_f64 v[43:44], v[43:44], v[6:7], -v[59:60]
	v_mul_f64 v[6:7], v[45:46], 0.5
	v_fma_f64 v[6:7], v[45:46], v[6:7], -v[39:40]
	v_fma_f64 v[0:1], v[37:38], v[6:7], v[0:1]
	v_mul_f64 v[6:7], v[37:38], v[45:46]
	v_fma_f64 v[0:1], s[4:5], v[8:9], v[0:1]
	v_fma_f64 v[6:7], s[4:5], v[59:60], v[6:7]
	v_add_u32_e32 v8, s2, v61
	v_ashrrev_i32_e32 v9, 31, v8
	v_lshlrev_b64 v[37:38], 3, v[8:9]
	v_mov_b32_e32 v9, s55
	v_add_co_u32_e32 v8, vcc, s54, v37
	v_addc_co_u32_e32 v9, vcc, v9, v38, vcc
	s_waitcnt vmcnt(0)
	global_load_dwordx2 v[10:11], v[10:11], off
	s_waitcnt vmcnt(0)
	v_fma_f64 v[10:11], s[22:23], v[10:11], v[0:1]
	v_add_f64 v[10:11], v[6:7], v[10:11]
	global_store_dwordx2 v[8:9], v[10:11], off
	global_load_dwordx2 v[8:9], v[47:48], off
	v_mul_f64 v[47:48], s[10:11], v[55:56]
	s_waitcnt vmcnt(0)
	v_fma_f64 v[0:1], s[22:23], v[8:9], v[0:1]
	v_mov_b32_e32 v9, s57
	v_add_f64 v[0:1], v[0:1], -v[6:7]
	v_subrev_u32_e32 v6, s2, v61
	v_ashrrev_i32_e32 v7, 31, v6
	v_lshlrev_b64 v[6:7], 3, v[6:7]
	v_add_co_u32_e32 v8, vcc, s56, v6
	v_addc_co_u32_e32 v9, vcc, v9, v7, vcc
	global_store_dwordx2 v[8:9], v[0:1], off
	v_add_f64 v[0:1], v[57:58], v[41:42]
	v_mul_f64 v[8:9], v[47:48], v[0:1]
	v_fma_f64 v[16:17], s[6:7], v[4:5], v[8:9]
	v_fma_f64 v[8:9], v[4:5], v[0:1], -v[51:52]
	v_mul_f64 v[4:5], v[0:1], 0.5
	v_fma_f64 v[0:1], v[0:1], v[4:5], -v[39:40]
	v_mul_f64 v[4:5], s[10:11], v[53:54]
	v_fma_f64 v[0:1], v[47:48], v[0:1], v[4:5]
	v_fma_f64 v[18:19], s[6:7], v[8:9], v[0:1]
	buffer_load_dword v8, off, s[84:87], 0 offset:16 ; 4-byte Folded Reload
	buffer_load_dword v9, off, s[84:87], 0 offset:20 ; 4-byte Folded Reload
	v_mov_b32_e32 v1, s69
	v_add_co_u32_e32 v0, vcc, s68, v27
	v_addc_co_u32_e32 v1, vcc, v1, v28, vcc
	s_waitcnt vmcnt(0)
	global_load_dwordx2 v[8:9], v[8:9], off
	s_waitcnt vmcnt(0)
	v_fma_f64 v[8:9], s[22:23], v[8:9], v[18:19]
	v_add_f64 v[8:9], v[8:9], -v[16:17]
	global_store_dwordx2 v[0:1], v[8:9], off offset:-8
	v_add_f64 v[8:9], v[57:58], -v[41:42]
	v_mov_b32_e32 v1, s71
	v_add_co_u32_e32 v0, vcc, s70, v27
	v_addc_co_u32_e32 v1, vcc, v1, v28, vcc
	v_mul_f64 v[10:11], v[8:9], 0.5
	v_mul_f64 v[12:13], v[47:48], v[8:9]
	v_fma_f64 v[10:11], v[8:9], v[10:11], -v[39:40]
	v_fma_f64 v[12:13], s[6:7], v[2:3], v[12:13]
	v_fma_f64 v[2:3], v[2:3], v[8:9], -v[51:52]
	v_fma_f64 v[8:9], v[47:48], v[10:11], v[4:5]
	v_fma_f64 v[2:3], s[6:7], v[2:3], v[8:9]
	buffer_load_dword v8, off, s[84:87], 0 offset:80 ; 4-byte Folded Reload
	buffer_load_dword v9, off, s[84:87], 0 offset:84 ; 4-byte Folded Reload
	s_waitcnt vmcnt(0)
	global_load_dwordx2 v[8:9], v[8:9], off
	s_waitcnt vmcnt(0)
	v_fma_f64 v[8:9], s[22:23], v[8:9], v[2:3]
	v_add_f64 v[8:9], v[12:13], v[8:9]
	global_store_dwordx2 v[0:1], v[8:9], off offset:8
	buffer_load_dword v0, off, s[84:87], 0 offset:72 ; 4-byte Folded Reload
	s_nop 0
	buffer_load_dword v1, off, s[84:87], 0 offset:76 ; 4-byte Folded Reload
	s_waitcnt vmcnt(0)
	global_load_dwordx2 v[0:1], v[0:1], off
	s_waitcnt vmcnt(0)
	v_fma_f64 v[0:1], s[22:23], v[0:1], v[2:3]
	v_mov_b32_e32 v3, s73
	v_add_co_u32_e32 v2, vcc, s72, v30
	v_addc_co_u32_e32 v3, vcc, v3, v31, vcc
	v_add_f64 v[0:1], v[0:1], -v[12:13]
	global_store_dwordx2 v[2:3], v[0:1], off offset:-8
	buffer_load_dword v10, off, s[84:87], 0 offset:64 ; 4-byte Folded Reload
	buffer_load_dword v11, off, s[84:87], 0 offset:68 ; 4-byte Folded Reload
	v_add_f64 v[0:1], v[57:58], v[45:46]
	v_mul_f64 v[2:3], v[0:1], 0.5
	v_mul_f64 v[8:9], v[47:48], v[0:1]
	v_fma_f64 v[2:3], v[0:1], v[2:3], -v[39:40]
	v_fma_f64 v[0:1], v[62:63], v[0:1], -v[51:52]
	v_fma_f64 v[8:9], s[6:7], v[62:63], v[8:9]
	v_fma_f64 v[2:3], v[47:48], v[2:3], v[4:5]
	;; [unrolled: 1-line block ×3, first 2 shown]
	v_mov_b32_e32 v3, s75
	v_add_co_u32_e32 v2, vcc, s74, v37
	v_addc_co_u32_e32 v3, vcc, v3, v38, vcc
	s_waitcnt vmcnt(0)
	global_load_dwordx2 v[10:11], v[10:11], off
	s_waitcnt vmcnt(0)
	v_fma_f64 v[10:11], s[22:23], v[10:11], v[0:1]
	v_add_f64 v[10:11], v[8:9], v[10:11]
	global_store_dwordx2 v[2:3], v[10:11], off offset:8
	buffer_load_dword v2, off, s[84:87], 0 offset:56 ; 4-byte Folded Reload
	s_nop 0
	buffer_load_dword v3, off, s[84:87], 0 offset:60 ; 4-byte Folded Reload
	s_waitcnt vmcnt(0)
	global_load_dwordx2 v[2:3], v[2:3], off
	s_waitcnt vmcnt(0)
	v_fma_f64 v[0:1], s[22:23], v[2:3], v[0:1]
	v_mov_b32_e32 v3, s77
	v_add_co_u32_e32 v2, vcc, s76, v6
	v_addc_co_u32_e32 v3, vcc, v3, v7, vcc
	v_add_co_u32_e32 v6, vcc, s78, v6
	v_add_f64 v[0:1], v[0:1], -v[8:9]
	global_store_dwordx2 v[2:3], v[0:1], off offset:-8
	v_add_f64 v[2:3], v[57:58], -v[45:46]
	v_mov_b32_e32 v0, s79
	v_addc_co_u32_e32 v7, vcc, v0, v7, vcc
	v_mul_f64 v[0:1], v[2:3], 0.5
	v_fma_f64 v[8:9], v[2:3], v[0:1], -v[39:40]
	v_mul_f64 v[0:1], v[47:48], v[2:3]
	v_fma_f64 v[2:3], v[49:50], v[2:3], -v[51:52]
	v_fma_f64 v[8:9], v[47:48], v[8:9], v[4:5]
	v_fma_f64 v[0:1], s[6:7], v[49:50], v[0:1]
	;; [unrolled: 1-line block ×3, first 2 shown]
	buffer_load_dword v8, off, s[84:87], 0 offset:48 ; 4-byte Folded Reload
	buffer_load_dword v9, off, s[84:87], 0 offset:52 ; 4-byte Folded Reload
	s_waitcnt vmcnt(0)
	global_load_dwordx2 v[8:9], v[8:9], off
	s_waitcnt vmcnt(0)
	v_fma_f64 v[8:9], s[22:23], v[8:9], v[2:3]
	v_add_f64 v[8:9], v[0:1], v[8:9]
	global_store_dwordx2 v[6:7], v[8:9], off offset:8
	v_add_u32_e32 v6, s2, v32
	v_ashrrev_i32_e32 v7, 31, v6
	v_lshlrev_b64 v[6:7], 3, v[6:7]
	v_mov_b32_e32 v8, s61
	v_add_co_u32_e32 v6, vcc, s60, v6
	v_addc_co_u32_e32 v7, vcc, v8, v7, vcc
	v_add_f64 v[8:9], v[41:42], v[45:46]
	v_mul_f64 v[10:11], v[8:9], 0.5
	v_mul_f64 v[12:13], v[47:48], v[8:9]
	v_fma_f64 v[10:11], v[8:9], v[10:11], -v[39:40]
	v_fma_f64 v[8:9], v[33:34], v[8:9], -v[51:52]
	v_fma_f64 v[12:13], s[6:7], v[33:34], v[12:13]
	v_fma_f64 v[10:11], v[47:48], v[10:11], v[4:5]
	;; [unrolled: 1-line block ×3, first 2 shown]
	buffer_load_dword v10, off, s[84:87], 0 offset:40 ; 4-byte Folded Reload
	buffer_load_dword v11, off, s[84:87], 0 offset:44 ; 4-byte Folded Reload
	s_waitcnt vmcnt(0)
	global_load_dwordx2 v[10:11], v[10:11], off
	s_waitcnt vmcnt(0)
	v_fma_f64 v[10:11], s[22:23], v[10:11], v[8:9]
	v_add_f64 v[10:11], v[12:13], v[10:11]
	global_store_dwordx2 v[6:7], v[10:11], off
	v_subrev_u32_e32 v6, s2, v26
	v_ashrrev_i32_e32 v7, 31, v6
	v_lshlrev_b64 v[6:7], 3, v[6:7]
	v_mov_b32_e32 v10, s63
	v_add_co_u32_e32 v6, vcc, s62, v6
	v_addc_co_u32_e32 v7, vcc, v10, v7, vcc
	buffer_load_dword v10, off, s[84:87], 0 offset:32 ; 4-byte Folded Reload
	buffer_load_dword v11, off, s[84:87], 0 offset:36 ; 4-byte Folded Reload
	s_waitcnt vmcnt(0)
	global_load_dwordx2 v[10:11], v[10:11], off
	s_waitcnt vmcnt(0)
	v_fma_f64 v[8:9], s[22:23], v[10:11], v[8:9]
	v_add_f64 v[8:9], v[8:9], -v[12:13]
	v_mov_b32_e32 v12, s59
	v_mov_b32_e32 v13, s1
	global_store_dwordx2 v[6:7], v[8:9], off
	v_subrev_u32_e32 v6, s2, v32
	v_ashrrev_i32_e32 v7, 31, v6
	v_lshlrev_b64 v[6:7], 3, v[6:7]
	v_mov_b32_e32 v8, s65
	v_add_co_u32_e32 v6, vcc, s64, v6
	v_addc_co_u32_e32 v7, vcc, v8, v7, vcc
	v_add_f64 v[8:9], v[41:42], -v[45:46]
	v_mul_f64 v[10:11], v[8:9], 0.5
	v_fma_f64 v[10:11], v[8:9], v[10:11], -v[39:40]
	v_fma_f64 v[4:5], v[47:48], v[10:11], v[4:5]
	v_mul_f64 v[10:11], v[47:48], v[8:9]
	v_fma_f64 v[8:9], v[43:44], v[8:9], -v[51:52]
	v_fma_f64 v[10:11], s[6:7], v[43:44], v[10:11]
	v_fma_f64 v[4:5], s[6:7], v[8:9], v[4:5]
	buffer_load_dword v8, off, s[84:87], 0 offset:8 ; 4-byte Folded Reload
	buffer_load_dword v9, off, s[84:87], 0 offset:12 ; 4-byte Folded Reload
	s_waitcnt vmcnt(0)
	global_load_dwordx2 v[8:9], v[8:9], off
	s_waitcnt vmcnt(0)
	v_fma_f64 v[8:9], s[22:23], v[8:9], v[4:5]
	v_add_f64 v[8:9], v[10:11], v[8:9]
	global_store_dwordx2 v[6:7], v[8:9], off
	buffer_load_dword v6, off, s[84:87], 0 offset:24 ; 4-byte Folded Reload
	s_nop 0
	buffer_load_dword v7, off, s[84:87], 0 offset:28 ; 4-byte Folded Reload
	buffer_load_dword v8, off, s[84:87], 0 offset:96 ; 4-byte Folded Reload
	;; [unrolled: 1-line block ×3, first 2 shown]
	s_waitcnt vmcnt(2)
	v_fma_f64 v[6:7], s[22:23], v[6:7], v[18:19]
	s_waitcnt vmcnt(0)
	v_fma_f64 v[2:3], s[22:23], v[8:9], v[2:3]
	buffer_load_dword v8, off, s[84:87], 0  ; 4-byte Folded Reload
	buffer_load_dword v9, off, s[84:87], 0 offset:4 ; 4-byte Folded Reload
	v_add_f64 v[6:7], v[16:17], v[6:7]
	v_add_f64 v[0:1], v[2:3], -v[0:1]
	s_waitcnt vmcnt(0)
	global_load_dwordx2 v[8:9], v[8:9], off
	s_waitcnt vmcnt(0)
	v_fma_f64 v[2:3], s[22:23], v[8:9], v[4:5]
	v_add_co_u32_e32 v4, vcc, s58, v30
	v_addc_co_u32_e32 v5, vcc, v12, v31, vcc
	v_add_co_u32_e32 v8, vcc, s0, v37
	v_addc_co_u32_e32 v9, vcc, v13, v38, vcc
	global_store_dwordx2 v[4:5], v[6:7], off offset:8
	global_store_dwordx2 v[8:9], v[0:1], off offset:-8
	v_add_f64 v[0:1], v[2:3], -v[10:11]
	v_add_u32_e32 v2, s2, v26
	v_ashrrev_i32_e32 v3, 31, v2
	v_lshlrev_b64 v[2:3], 3, v[2:3]
	v_mov_b32_e32 v4, s67
	v_add_co_u32_e32 v2, vcc, s66, v2
	v_addc_co_u32_e32 v3, vcc, v4, v3, vcc
	global_store_dwordx2 v[2:3], v[0:1], off
.LBB0_2:
	s_endpgm
	.section	.rodata,"a",@progbits
	.p2align	6, 0x0
	.amdhsa_kernel _Z6kernelPdS_S_S_S_S_S_S_S_S_S_S_S_S_S_S_S_S_S_S_S_S_S_S_S_S_S_S_S_S_S_iiiiiiiddddddddddddddd
		.amdhsa_group_segment_fixed_size 0
		.amdhsa_private_segment_fixed_size 204
		.amdhsa_kernarg_size 656
		.amdhsa_user_sgpr_count 6
		.amdhsa_user_sgpr_private_segment_buffer 1
		.amdhsa_user_sgpr_dispatch_ptr 0
		.amdhsa_user_sgpr_queue_ptr 0
		.amdhsa_user_sgpr_kernarg_segment_ptr 1
		.amdhsa_user_sgpr_dispatch_id 0
		.amdhsa_user_sgpr_flat_scratch_init 0
		.amdhsa_user_sgpr_private_segment_size 0
		.amdhsa_uses_dynamic_stack 0
		.amdhsa_system_sgpr_private_segment_wavefront_offset 1
		.amdhsa_system_sgpr_workgroup_id_x 1
		.amdhsa_system_sgpr_workgroup_id_y 1
		.amdhsa_system_sgpr_workgroup_id_z 1
		.amdhsa_system_sgpr_workgroup_info 0
		.amdhsa_system_vgpr_workitem_id 2
		.amdhsa_next_free_vgpr 64
		.amdhsa_next_free_sgpr 88
		.amdhsa_reserve_vcc 1
		.amdhsa_reserve_flat_scratch 0
		.amdhsa_float_round_mode_32 0
		.amdhsa_float_round_mode_16_64 0
		.amdhsa_float_denorm_mode_32 3
		.amdhsa_float_denorm_mode_16_64 3
		.amdhsa_dx10_clamp 1
		.amdhsa_ieee_mode 1
		.amdhsa_fp16_overflow 0
		.amdhsa_exception_fp_ieee_invalid_op 0
		.amdhsa_exception_fp_denorm_src 0
		.amdhsa_exception_fp_ieee_div_zero 0
		.amdhsa_exception_fp_ieee_overflow 0
		.amdhsa_exception_fp_ieee_underflow 0
		.amdhsa_exception_fp_ieee_inexact 0
		.amdhsa_exception_int_div_zero 0
	.end_amdhsa_kernel
	.text
.Lfunc_end0:
	.size	_Z6kernelPdS_S_S_S_S_S_S_S_S_S_S_S_S_S_S_S_S_S_S_S_S_S_S_S_S_S_S_S_S_S_iiiiiiiddddddddddddddd, .Lfunc_end0-_Z6kernelPdS_S_S_S_S_S_S_S_S_S_S_S_S_S_S_S_S_S_S_S_S_S_S_S_S_S_S_S_S_S_iiiiiiiddddddddddddddd
                                        ; -- End function
	.set _Z6kernelPdS_S_S_S_S_S_S_S_S_S_S_S_S_S_S_S_S_S_S_S_S_S_S_S_S_S_S_S_S_S_iiiiiiiddddddddddddddd.num_vgpr, 64
	.set _Z6kernelPdS_S_S_S_S_S_S_S_S_S_S_S_S_S_S_S_S_S_S_S_S_S_S_S_S_S_S_S_S_S_iiiiiiiddddddddddddddd.num_agpr, 0
	.set _Z6kernelPdS_S_S_S_S_S_S_S_S_S_S_S_S_S_S_S_S_S_S_S_S_S_S_S_S_S_S_S_S_S_iiiiiiiddddddddddddddd.numbered_sgpr, 88
	.set _Z6kernelPdS_S_S_S_S_S_S_S_S_S_S_S_S_S_S_S_S_S_S_S_S_S_S_S_S_S_S_S_S_S_iiiiiiiddddddddddddddd.num_named_barrier, 0
	.set _Z6kernelPdS_S_S_S_S_S_S_S_S_S_S_S_S_S_S_S_S_S_S_S_S_S_S_S_S_S_S_S_S_S_iiiiiiiddddddddddddddd.private_seg_size, 204
	.set _Z6kernelPdS_S_S_S_S_S_S_S_S_S_S_S_S_S_S_S_S_S_S_S_S_S_S_S_S_S_S_S_S_S_iiiiiiiddddddddddddddd.uses_vcc, 1
	.set _Z6kernelPdS_S_S_S_S_S_S_S_S_S_S_S_S_S_S_S_S_S_S_S_S_S_S_S_S_S_S_S_S_S_iiiiiiiddddddddddddddd.uses_flat_scratch, 0
	.set _Z6kernelPdS_S_S_S_S_S_S_S_S_S_S_S_S_S_S_S_S_S_S_S_S_S_S_S_S_S_S_S_S_S_iiiiiiiddddddddddddddd.has_dyn_sized_stack, 0
	.set _Z6kernelPdS_S_S_S_S_S_S_S_S_S_S_S_S_S_S_S_S_S_S_S_S_S_S_S_S_S_S_S_S_S_iiiiiiiddddddddddddddd.has_recursion, 0
	.set _Z6kernelPdS_S_S_S_S_S_S_S_S_S_S_S_S_S_S_S_S_S_S_S_S_S_S_S_S_S_S_S_S_S_iiiiiiiddddddddddddddd.has_indirect_call, 0
	.section	.AMDGPU.csdata,"",@progbits
; Kernel info:
; codeLenInByte = 5140
; TotalNumSgprs: 92
; NumVgprs: 64
; ScratchSize: 204
; MemoryBound: 0
; FloatMode: 240
; IeeeMode: 1
; LDSByteSize: 0 bytes/workgroup (compile time only)
; SGPRBlocks: 11
; VGPRBlocks: 15
; NumSGPRsForWavesPerEU: 92
; NumVGPRsForWavesPerEU: 64
; Occupancy: 4
; WaveLimiterHint : 1
; COMPUTE_PGM_RSRC2:SCRATCH_EN: 1
; COMPUTE_PGM_RSRC2:USER_SGPR: 6
; COMPUTE_PGM_RSRC2:TRAP_HANDLER: 0
; COMPUTE_PGM_RSRC2:TGID_X_EN: 1
; COMPUTE_PGM_RSRC2:TGID_Y_EN: 1
; COMPUTE_PGM_RSRC2:TGID_Z_EN: 1
; COMPUTE_PGM_RSRC2:TIDIG_COMP_CNT: 2
	.section	.AMDGPU.gpr_maximums,"",@progbits
	.set amdgpu.max_num_vgpr, 0
	.set amdgpu.max_num_agpr, 0
	.set amdgpu.max_num_sgpr, 0
	.section	.AMDGPU.csdata,"",@progbits
	.type	__hip_cuid_5d2ca04534240ddf,@object ; @__hip_cuid_5d2ca04534240ddf
	.section	.bss,"aw",@nobits
	.globl	__hip_cuid_5d2ca04534240ddf
__hip_cuid_5d2ca04534240ddf:
	.byte	0                               ; 0x0
	.size	__hip_cuid_5d2ca04534240ddf, 1

	.ident	"AMD clang version 22.0.0git (https://github.com/RadeonOpenCompute/llvm-project roc-7.2.4 26084 f58b06dce1f9c15707c5f808fd002e18c2accf7e)"
	.section	".note.GNU-stack","",@progbits
	.addrsig
	.addrsig_sym __hip_cuid_5d2ca04534240ddf
	.amdgpu_metadata
---
amdhsa.kernels:
  - .args:
      - .address_space:  global
        .offset:         0
        .size:           8
        .value_kind:     global_buffer
      - .address_space:  global
        .offset:         8
        .size:           8
        .value_kind:     global_buffer
      - .address_space:  global
        .offset:         16
        .size:           8
        .value_kind:     global_buffer
      - .address_space:  global
        .offset:         24
        .size:           8
        .value_kind:     global_buffer
      - .address_space:  global
        .offset:         32
        .size:           8
        .value_kind:     global_buffer
      - .address_space:  global
        .offset:         40
        .size:           8
        .value_kind:     global_buffer
      - .address_space:  global
        .offset:         48
        .size:           8
        .value_kind:     global_buffer
      - .address_space:  global
        .offset:         56
        .size:           8
        .value_kind:     global_buffer
      - .address_space:  global
        .offset:         64
        .size:           8
        .value_kind:     global_buffer
      - .address_space:  global
        .offset:         72
        .size:           8
        .value_kind:     global_buffer
      - .address_space:  global
        .offset:         80
        .size:           8
        .value_kind:     global_buffer
      - .address_space:  global
        .offset:         88
        .size:           8
        .value_kind:     global_buffer
      - .address_space:  global
        .offset:         96
        .size:           8
        .value_kind:     global_buffer
      - .address_space:  global
        .offset:         104
        .size:           8
        .value_kind:     global_buffer
      - .address_space:  global
        .offset:         112
        .size:           8
        .value_kind:     global_buffer
      - .address_space:  global
        .offset:         120
        .size:           8
        .value_kind:     global_buffer
      - .address_space:  global
        .offset:         128
        .size:           8
        .value_kind:     global_buffer
      - .address_space:  global
        .offset:         136
        .size:           8
        .value_kind:     global_buffer
      - .address_space:  global
        .offset:         144
        .size:           8
        .value_kind:     global_buffer
      - .address_space:  global
        .offset:         152
        .size:           8
        .value_kind:     global_buffer
      - .address_space:  global
        .offset:         160
        .size:           8
        .value_kind:     global_buffer
      - .address_space:  global
        .offset:         168
        .size:           8
        .value_kind:     global_buffer
      - .address_space:  global
        .offset:         176
        .size:           8
        .value_kind:     global_buffer
      - .address_space:  global
        .offset:         184
        .size:           8
        .value_kind:     global_buffer
      - .address_space:  global
        .offset:         192
        .size:           8
        .value_kind:     global_buffer
      - .address_space:  global
        .offset:         200
        .size:           8
        .value_kind:     global_buffer
      - .address_space:  global
        .offset:         208
        .size:           8
        .value_kind:     global_buffer
      - .address_space:  global
        .offset:         216
        .size:           8
        .value_kind:     global_buffer
      - .address_space:  global
        .offset:         224
        .size:           8
        .value_kind:     global_buffer
      - .address_space:  global
        .offset:         232
        .size:           8
        .value_kind:     global_buffer
      - .address_space:  global
        .offset:         240
        .size:           8
        .value_kind:     global_buffer
      - .offset:         248
        .size:           4
        .value_kind:     by_value
      - .offset:         252
        .size:           4
        .value_kind:     by_value
      - .offset:         256
        .size:           4
        .value_kind:     by_value
      - .offset:         260
        .size:           4
        .value_kind:     by_value
      - .offset:         264
        .size:           4
        .value_kind:     by_value
      - .offset:         268
        .size:           4
        .value_kind:     by_value
      - .offset:         272
        .size:           4
        .value_kind:     by_value
      - .offset:         280
        .size:           8
        .value_kind:     by_value
      - .offset:         288
        .size:           8
        .value_kind:     by_value
      - .offset:         296
        .size:           8
        .value_kind:     by_value
      - .offset:         304
        .size:           8
        .value_kind:     by_value
      - .offset:         312
        .size:           8
        .value_kind:     by_value
      - .offset:         320
        .size:           8
        .value_kind:     by_value
      - .offset:         328
        .size:           8
        .value_kind:     by_value
      - .offset:         336
        .size:           8
        .value_kind:     by_value
      - .offset:         344
        .size:           8
        .value_kind:     by_value
      - .offset:         352
        .size:           8
        .value_kind:     by_value
      - .offset:         360
        .size:           8
        .value_kind:     by_value
      - .offset:         368
        .size:           8
        .value_kind:     by_value
      - .offset:         376
        .size:           8
        .value_kind:     by_value
      - .offset:         384
        .size:           8
        .value_kind:     by_value
      - .offset:         392
        .size:           8
        .value_kind:     by_value
      - .offset:         400
        .size:           4
        .value_kind:     hidden_block_count_x
      - .offset:         404
        .size:           4
        .value_kind:     hidden_block_count_y
      - .offset:         408
        .size:           4
        .value_kind:     hidden_block_count_z
      - .offset:         412
        .size:           2
        .value_kind:     hidden_group_size_x
      - .offset:         414
        .size:           2
        .value_kind:     hidden_group_size_y
      - .offset:         416
        .size:           2
        .value_kind:     hidden_group_size_z
      - .offset:         418
        .size:           2
        .value_kind:     hidden_remainder_x
      - .offset:         420
        .size:           2
        .value_kind:     hidden_remainder_y
      - .offset:         422
        .size:           2
        .value_kind:     hidden_remainder_z
      - .offset:         440
        .size:           8
        .value_kind:     hidden_global_offset_x
      - .offset:         448
        .size:           8
        .value_kind:     hidden_global_offset_y
      - .offset:         456
        .size:           8
        .value_kind:     hidden_global_offset_z
      - .offset:         464
        .size:           2
        .value_kind:     hidden_grid_dims
    .group_segment_fixed_size: 0
    .kernarg_segment_align: 8
    .kernarg_segment_size: 656
    .language:       OpenCL C
    .language_version:
      - 2
      - 0
    .max_flat_workgroup_size: 1024
    .name:           _Z6kernelPdS_S_S_S_S_S_S_S_S_S_S_S_S_S_S_S_S_S_S_S_S_S_S_S_S_S_S_S_S_S_iiiiiiiddddddddddddddd
    .private_segment_fixed_size: 204
    .sgpr_count:     92
    .sgpr_spill_count: 0
    .symbol:         _Z6kernelPdS_S_S_S_S_S_S_S_S_S_S_S_S_S_S_S_S_S_S_S_S_S_S_S_S_S_S_S_S_S_iiiiiiiddddddddddddddd.kd
    .uniform_work_group_size: 1
    .uses_dynamic_stack: false
    .vgpr_count:     64
    .vgpr_spill_count: 50
    .wavefront_size: 64
amdhsa.target:   amdgcn-amd-amdhsa--gfx906
amdhsa.version:
  - 1
  - 2
...

	.end_amdgpu_metadata
